;; amdgpu-corpus repo=ROCm/rocFFT kind=compiled arch=gfx950 opt=O3
	.text
	.amdgcn_target "amdgcn-amd-amdhsa--gfx950"
	.amdhsa_code_object_version 6
	.protected	fft_rtc_fwd_len1210_factors_2_5_11_11_wgs_110_tpt_110_halfLds_sp_op_CI_CI_sbrr_dirReg ; -- Begin function fft_rtc_fwd_len1210_factors_2_5_11_11_wgs_110_tpt_110_halfLds_sp_op_CI_CI_sbrr_dirReg
	.globl	fft_rtc_fwd_len1210_factors_2_5_11_11_wgs_110_tpt_110_halfLds_sp_op_CI_CI_sbrr_dirReg
	.p2align	8
	.type	fft_rtc_fwd_len1210_factors_2_5_11_11_wgs_110_tpt_110_halfLds_sp_op_CI_CI_sbrr_dirReg,@function
fft_rtc_fwd_len1210_factors_2_5_11_11_wgs_110_tpt_110_halfLds_sp_op_CI_CI_sbrr_dirReg: ; @fft_rtc_fwd_len1210_factors_2_5_11_11_wgs_110_tpt_110_halfLds_sp_op_CI_CI_sbrr_dirReg
; %bb.0:
	s_load_dwordx4 s[12:15], s[0:1], 0x18
	s_load_dwordx4 s[4:7], s[0:1], 0x0
	;; [unrolled: 1-line block ×3, first 2 shown]
	v_mul_u32_u24_e32 v1, 0x254, v0
	v_add_u32_sdwa v6, s2, v1 dst_sel:DWORD dst_unused:UNUSED_PAD src0_sel:DWORD src1_sel:WORD_1
	s_waitcnt lgkmcnt(0)
	s_load_dwordx2 s[18:19], s[12:13], 0x0
	s_load_dwordx2 s[16:17], s[14:15], 0x0
	v_mov_b32_e32 v4, 0
	v_cmp_lt_u64_e64 s[2:3], s[6:7], 2
	v_mov_b32_e32 v7, v4
	s_and_b64 vcc, exec, s[2:3]
	v_mov_b64_e32 v[2:3], 0
	s_cbranch_vccnz .LBB0_8
; %bb.1:
	s_load_dwordx2 s[2:3], s[0:1], 0x10
	s_add_u32 s20, s14, 8
	s_addc_u32 s21, s15, 0
	s_add_u32 s22, s12, 8
	s_addc_u32 s23, s13, 0
	s_waitcnt lgkmcnt(0)
	s_add_u32 s24, s2, 8
	v_mov_b64_e32 v[2:3], 0
	s_addc_u32 s25, s3, 0
	s_mov_b64 s[26:27], 1
	v_mov_b64_e32 v[8:9], v[2:3]
.LBB0_2:                                ; =>This Inner Loop Header: Depth=1
	s_load_dwordx2 s[28:29], s[24:25], 0x0
                                        ; implicit-def: $vgpr10_vgpr11
	s_waitcnt lgkmcnt(0)
	v_or_b32_e32 v5, s29, v7
	v_cmp_ne_u64_e32 vcc, 0, v[4:5]
	s_and_saveexec_b64 s[2:3], vcc
	s_xor_b64 s[30:31], exec, s[2:3]
	s_cbranch_execz .LBB0_4
; %bb.3:                                ;   in Loop: Header=BB0_2 Depth=1
	v_cvt_f32_u32_e32 v1, s28
	v_cvt_f32_u32_e32 v5, s29
	s_sub_u32 s2, 0, s28
	s_subb_u32 s3, 0, s29
	v_fmac_f32_e32 v1, 0x4f800000, v5
	v_rcp_f32_e32 v1, v1
	s_nop 0
	v_mul_f32_e32 v1, 0x5f7ffffc, v1
	v_mul_f32_e32 v5, 0x2f800000, v1
	v_trunc_f32_e32 v5, v5
	v_fmac_f32_e32 v1, 0xcf800000, v5
	v_cvt_u32_f32_e32 v5, v5
	v_cvt_u32_f32_e32 v1, v1
	v_mul_lo_u32 v10, s2, v5
	v_mul_hi_u32 v12, s2, v1
	v_mul_lo_u32 v11, s3, v1
	v_add_u32_e32 v12, v12, v10
	v_mul_lo_u32 v14, s2, v1
	v_add_u32_e32 v15, v12, v11
	v_mul_hi_u32 v10, v1, v14
	v_mul_hi_u32 v13, v1, v15
	v_mul_lo_u32 v12, v1, v15
	v_mov_b32_e32 v11, v4
	v_lshl_add_u64 v[10:11], v[10:11], 0, v[12:13]
	v_mul_hi_u32 v13, v5, v14
	v_mul_lo_u32 v14, v5, v14
	v_add_co_u32_e32 v10, vcc, v10, v14
	v_mul_hi_u32 v12, v5, v15
	s_nop 0
	v_addc_co_u32_e32 v10, vcc, v11, v13, vcc
	v_mov_b32_e32 v11, v4
	s_nop 0
	v_addc_co_u32_e32 v13, vcc, 0, v12, vcc
	v_mul_lo_u32 v12, v5, v15
	v_lshl_add_u64 v[10:11], v[10:11], 0, v[12:13]
	v_add_co_u32_e32 v1, vcc, v1, v10
	v_mul_lo_u32 v12, s2, v1
	s_nop 0
	v_addc_co_u32_e32 v5, vcc, v5, v11, vcc
	v_mul_lo_u32 v10, s2, v5
	v_mul_hi_u32 v11, s2, v1
	v_add_u32_e32 v10, v11, v10
	v_mul_lo_u32 v11, s3, v1
	v_add_u32_e32 v14, v10, v11
	v_mul_hi_u32 v16, v5, v12
	v_mul_lo_u32 v17, v5, v12
	v_mul_hi_u32 v11, v1, v14
	v_mul_lo_u32 v10, v1, v14
	v_mul_hi_u32 v12, v1, v12
	v_mov_b32_e32 v13, v4
	v_lshl_add_u64 v[10:11], v[12:13], 0, v[10:11]
	v_add_co_u32_e32 v10, vcc, v10, v17
	v_mul_hi_u32 v15, v5, v14
	s_nop 0
	v_addc_co_u32_e32 v10, vcc, v11, v16, vcc
	v_mul_lo_u32 v12, v5, v14
	s_nop 0
	v_addc_co_u32_e32 v13, vcc, 0, v15, vcc
	v_mov_b32_e32 v11, v4
	v_lshl_add_u64 v[10:11], v[10:11], 0, v[12:13]
	v_add_co_u32_e32 v1, vcc, v1, v10
	v_mul_hi_u32 v12, v6, v1
	s_nop 0
	v_addc_co_u32_e32 v5, vcc, v5, v11, vcc
	v_mad_u64_u32 v[10:11], s[2:3], v6, v5, 0
	v_mov_b32_e32 v13, v4
	v_lshl_add_u64 v[10:11], v[12:13], 0, v[10:11]
	v_mad_u64_u32 v[14:15], s[2:3], v7, v1, 0
	v_add_co_u32_e32 v1, vcc, v10, v14
	v_mad_u64_u32 v[12:13], s[2:3], v7, v5, 0
	s_nop 0
	v_addc_co_u32_e32 v10, vcc, v11, v15, vcc
	v_mov_b32_e32 v11, v4
	s_nop 0
	v_addc_co_u32_e32 v13, vcc, 0, v13, vcc
	v_lshl_add_u64 v[10:11], v[10:11], 0, v[12:13]
	v_mul_lo_u32 v1, s29, v10
	v_mul_lo_u32 v5, s28, v11
	v_mad_u64_u32 v[12:13], s[2:3], s28, v10, 0
	v_add3_u32 v1, v13, v5, v1
	v_sub_u32_e32 v5, v7, v1
	v_mov_b32_e32 v13, s29
	v_sub_co_u32_e32 v16, vcc, v6, v12
	v_lshl_add_u64 v[14:15], v[10:11], 0, 1
	s_nop 0
	v_subb_co_u32_e64 v5, s[2:3], v5, v13, vcc
	v_subrev_co_u32_e64 v12, s[2:3], s28, v16
	v_subb_co_u32_e32 v1, vcc, v7, v1, vcc
	s_nop 0
	v_subbrev_co_u32_e64 v5, s[2:3], 0, v5, s[2:3]
	v_cmp_le_u32_e64 s[2:3], s29, v5
	v_cmp_le_u32_e32 vcc, s29, v1
	s_nop 0
	v_cndmask_b32_e64 v13, 0, -1, s[2:3]
	v_cmp_le_u32_e64 s[2:3], s28, v12
	s_nop 1
	v_cndmask_b32_e64 v12, 0, -1, s[2:3]
	v_cmp_eq_u32_e64 s[2:3], s29, v5
	s_nop 1
	v_cndmask_b32_e64 v5, v13, v12, s[2:3]
	v_lshl_add_u64 v[12:13], v[10:11], 0, 2
	v_cmp_ne_u32_e64 s[2:3], 0, v5
	s_nop 1
	v_cndmask_b32_e64 v5, v15, v13, s[2:3]
	v_cndmask_b32_e64 v13, 0, -1, vcc
	v_cmp_le_u32_e32 vcc, s28, v16
	s_nop 1
	v_cndmask_b32_e64 v15, 0, -1, vcc
	v_cmp_eq_u32_e32 vcc, s29, v1
	s_nop 1
	v_cndmask_b32_e32 v1, v13, v15, vcc
	v_cmp_ne_u32_e32 vcc, 0, v1
	v_cndmask_b32_e64 v1, v14, v12, s[2:3]
	s_nop 0
	v_cndmask_b32_e32 v11, v11, v5, vcc
	v_cndmask_b32_e32 v10, v10, v1, vcc
.LBB0_4:                                ;   in Loop: Header=BB0_2 Depth=1
	s_andn2_saveexec_b64 s[2:3], s[30:31]
	s_cbranch_execz .LBB0_6
; %bb.5:                                ;   in Loop: Header=BB0_2 Depth=1
	v_cvt_f32_u32_e32 v1, s28
	s_sub_i32 s30, 0, s28
	v_rcp_iflag_f32_e32 v1, v1
	s_nop 0
	v_mul_f32_e32 v1, 0x4f7ffffe, v1
	v_cvt_u32_f32_e32 v1, v1
	v_mul_lo_u32 v5, s30, v1
	v_mul_hi_u32 v5, v1, v5
	v_add_u32_e32 v1, v1, v5
	v_mul_hi_u32 v1, v6, v1
	v_mul_lo_u32 v5, v1, s28
	v_sub_u32_e32 v5, v6, v5
	v_add_u32_e32 v10, 1, v1
	v_subrev_u32_e32 v11, s28, v5
	v_cmp_le_u32_e32 vcc, s28, v5
	s_nop 1
	v_cndmask_b32_e32 v5, v5, v11, vcc
	v_cndmask_b32_e32 v1, v1, v10, vcc
	v_add_u32_e32 v10, 1, v1
	v_cmp_le_u32_e32 vcc, s28, v5
	v_mov_b32_e32 v11, v4
	s_nop 0
	v_cndmask_b32_e32 v10, v1, v10, vcc
.LBB0_6:                                ;   in Loop: Header=BB0_2 Depth=1
	s_or_b64 exec, exec, s[2:3]
	v_mad_u64_u32 v[12:13], s[2:3], v10, s28, 0
	s_load_dwordx2 s[2:3], s[22:23], 0x0
	v_mul_lo_u32 v1, v11, s28
	v_mul_lo_u32 v5, v10, s29
	s_load_dwordx2 s[28:29], s[20:21], 0x0
	s_add_u32 s26, s26, 1
	v_add3_u32 v1, v13, v5, v1
	v_sub_co_u32_e32 v5, vcc, v6, v12
	s_addc_u32 s27, s27, 0
	s_nop 0
	v_subb_co_u32_e32 v1, vcc, v7, v1, vcc
	s_add_u32 s20, s20, 8
	s_waitcnt lgkmcnt(0)
	v_mul_lo_u32 v6, s2, v1
	v_mul_lo_u32 v7, s3, v5
	v_mad_u64_u32 v[2:3], s[2:3], s2, v5, v[2:3]
	s_addc_u32 s21, s21, 0
	v_add3_u32 v3, v7, v3, v6
	v_mul_lo_u32 v1, s28, v1
	v_mul_lo_u32 v6, s29, v5
	v_mad_u64_u32 v[8:9], s[2:3], s28, v5, v[8:9]
	s_add_u32 s22, s22, 8
	v_add3_u32 v9, v6, v9, v1
	s_addc_u32 s23, s23, 0
	v_mov_b64_e32 v[6:7], s[6:7]
	s_add_u32 s24, s24, 8
	v_cmp_ge_u64_e32 vcc, s[26:27], v[6:7]
	s_addc_u32 s25, s25, 0
	s_cbranch_vccnz .LBB0_9
; %bb.7:                                ;   in Loop: Header=BB0_2 Depth=1
	v_mov_b64_e32 v[6:7], v[10:11]
	s_branch .LBB0_2
.LBB0_8:
	v_mov_b64_e32 v[8:9], v[2:3]
	v_mov_b64_e32 v[10:11], v[6:7]
.LBB0_9:
	s_load_dwordx2 s[0:1], s[0:1], 0x28
	s_lshl_b64 s[20:21], s[6:7], 3
	s_add_u32 s6, s14, s20
	s_addc_u32 s7, s15, s21
                                        ; implicit-def: $sgpr14
                                        ; implicit-def: $sgpr15
                                        ; implicit-def: $vgpr45
                                        ; implicit-def: $vgpr49
                                        ; implicit-def: $vgpr46
                                        ; implicit-def: $vgpr47
                                        ; implicit-def: $vgpr48
	s_waitcnt lgkmcnt(0)
	v_cmp_gt_u64_e32 vcc, s[0:1], v[10:11]
	v_cmp_le_u64_e64 s[0:1], s[0:1], v[10:11]
	s_and_saveexec_b64 s[2:3], s[0:1]
	s_xor_b64 s[0:1], exec, s[2:3]
; %bb.10:
	s_mov_b32 s2, 0x253c826
	v_mul_hi_u32 v1, v0, s2
	v_mul_u32_u24_e32 v1, 0x6e, v1
	v_sub_u32_e32 v45, v0, v1
	v_add_u32_e32 v49, 0x6e, v45
	v_add_u32_e32 v46, 0xdc, v45
	;; [unrolled: 1-line block ×4, first 2 shown]
	s_mov_b32 s15, 0
	s_mov_b32 s14, 0
                                        ; implicit-def: $vgpr0
                                        ; implicit-def: $vgpr2_vgpr3
; %bb.11:
	s_or_saveexec_b64 s[2:3], s[0:1]
	s_load_dwordx2 s[6:7], s[6:7], 0x0
	v_mov_b32_e32 v44, s15
	v_mov_b32_e32 v20, s14
	;; [unrolled: 1-line block ×3, first 2 shown]
                                        ; implicit-def: $vgpr30
                                        ; implicit-def: $vgpr18
                                        ; implicit-def: $vgpr6
                                        ; implicit-def: $vgpr4
                                        ; implicit-def: $vgpr14
                                        ; implicit-def: $vgpr12
                                        ; implicit-def: $vgpr16
                                        ; implicit-def: $vgpr22
                                        ; implicit-def: $vgpr26
                                        ; implicit-def: $vgpr24
                                        ; implicit-def: $vgpr32
	s_xor_b64 exec, exec, s[2:3]
	s_cbranch_execz .LBB0_15
; %bb.12:
	s_add_u32 s0, s12, s20
	s_addc_u32 s1, s13, s21
	s_load_dwordx2 s[0:1], s[0:1], 0x0
	s_mov_b32 s12, 0x253c826
	s_waitcnt lgkmcnt(0)
	v_mul_lo_u32 v1, s1, v10
	v_mul_lo_u32 v6, s0, v11
	v_mad_u64_u32 v[4:5], s[0:1], s0, v10, 0
	v_add3_u32 v5, v5, v6, v1
	v_mul_hi_u32 v1, v0, s12
	v_mul_u32_u24_e32 v1, 0x6e, v1
	v_sub_u32_e32 v45, v0, v1
	v_mad_u64_u32 v[6:7], s[0:1], s18, v45, 0
	v_mov_b32_e32 v0, v7
	v_mad_u64_u32 v[0:1], s[0:1], s19, v45, v[0:1]
	v_mov_b32_e32 v7, v0
	v_lshl_add_u64 v[0:1], v[4:5], 3, s[8:9]
	v_lshl_add_u64 v[0:1], v[2:3], 3, v[0:1]
	;; [unrolled: 1-line block ×3, first 2 shown]
	v_add_u32_e32 v7, 0x25d, v45
	v_mad_u64_u32 v[4:5], s[0:1], s18, v7, 0
	v_mov_b32_e32 v6, v5
	v_mad_u64_u32 v[6:7], s[0:1], s19, v7, v[6:7]
	v_mov_b32_e32 v5, v6
	v_add_u32_e32 v49, 0x6e, v45
	v_lshl_add_u64 v[6:7], v[4:5], 3, v[0:1]
	v_mad_u64_u32 v[4:5], s[0:1], s18, v49, 0
	v_mov_b32_e32 v12, v5
	v_mad_u64_u32 v[12:13], s[0:1], s19, v49, v[12:13]
	v_mov_b32_e32 v5, v12
	v_add_u32_e32 v13, 0x2cb, v45
	v_lshl_add_u64 v[18:19], v[4:5], 3, v[0:1]
	v_mad_u64_u32 v[4:5], s[0:1], s18, v13, 0
	v_mov_b32_e32 v12, v5
	v_mad_u64_u32 v[12:13], s[0:1], s19, v13, v[12:13]
	v_mov_b32_e32 v5, v12
	v_add_u32_e32 v46, 0xdc, v45
	v_lshl_add_u64 v[20:21], v[4:5], 3, v[0:1]
	global_load_dwordx2 v[4:5], v[2:3], off
	global_load_dwordx2 v[14:15], v[6:7], off
	;; [unrolled: 1-line block ×4, first 2 shown]
	v_mad_u64_u32 v[2:3], s[0:1], s18, v46, 0
	v_mov_b32_e32 v6, v3
	v_mad_u64_u32 v[6:7], s[0:1], s19, v46, v[6:7]
	v_add_u32_e32 v19, 0x339, v45
	v_mov_b32_e32 v3, v6
	v_mad_u64_u32 v[6:7], s[0:1], s18, v19, 0
	v_mov_b32_e32 v18, v7
	v_mad_u64_u32 v[18:19], s[0:1], s19, v19, v[18:19]
	v_add_u32_e32 v47, 0x14a, v45
	v_mov_b32_e32 v7, v18
	v_mad_u64_u32 v[18:19], s[0:1], s18, v47, 0
	v_mov_b32_e32 v20, v19
	v_mad_u64_u32 v[20:21], s[0:1], s19, v47, v[20:21]
	v_mov_b32_e32 v19, v20
	v_add_u32_e32 v23, 0x3a7, v45
	v_lshl_add_u64 v[20:21], v[18:19], 3, v[0:1]
	v_mad_u64_u32 v[18:19], s[0:1], s18, v23, 0
	v_mov_b32_e32 v22, v19
	v_mad_u64_u32 v[22:23], s[0:1], s19, v23, v[22:23]
	v_lshl_add_u64 v[2:3], v[2:3], 3, v[0:1]
	v_mov_b32_e32 v19, v22
	v_add_u32_e32 v48, 0x1b8, v45
	v_lshl_add_u64 v[6:7], v[6:7], 3, v[0:1]
	v_lshl_add_u64 v[28:29], v[18:19], 3, v[0:1]
	global_load_dwordx2 v[22:23], v[2:3], off
	global_load_dwordx2 v[26:27], v[6:7], off
	;; [unrolled: 1-line block ×4, first 2 shown]
	v_mad_u64_u32 v[2:3], s[0:1], s18, v48, 0
	v_mov_b32_e32 v6, v3
	v_mad_u64_u32 v[6:7], s[0:1], s19, v48, v[6:7]
	v_add_u32_e32 v21, 0x415, v45
	v_mov_b32_e32 v3, v6
	v_mad_u64_u32 v[6:7], s[0:1], s18, v21, 0
	v_mov_b32_e32 v20, v7
	v_mad_u64_u32 v[20:21], s[0:1], s19, v21, v[20:21]
	v_lshl_add_u64 v[2:3], v[2:3], 3, v[0:1]
	v_mov_b32_e32 v7, v20
	v_lshl_add_u64 v[6:7], v[6:7], 3, v[0:1]
	global_load_dwordx2 v[32:33], v[2:3], off
	global_load_dwordx2 v[30:31], v[6:7], off
	v_cmp_gt_u32_e64 s[0:1], 55, v45
	v_mov_b32_e32 v21, 0
	v_mov_b32_e32 v20, 0
                                        ; implicit-def: $vgpr7
	s_and_saveexec_b64 s[8:9], s[0:1]
	s_cbranch_execz .LBB0_14
; %bb.13:
	v_add_u32_e32 v7, 0x226, v45
	v_mad_u64_u32 v[2:3], s[0:1], s18, v7, 0
	v_mov_b32_e32 v6, v3
	v_mad_u64_u32 v[6:7], s[0:1], s19, v7, v[6:7]
	v_add_u32_e32 v21, 0x483, v45
	v_mov_b32_e32 v3, v6
	v_mad_u64_u32 v[6:7], s[0:1], s18, v21, 0
	v_mov_b32_e32 v20, v7
	v_mad_u64_u32 v[20:21], s[0:1], s19, v21, v[20:21]
	v_lshl_add_u64 v[2:3], v[2:3], 3, v[0:1]
	v_mov_b32_e32 v7, v20
	v_lshl_add_u64 v[0:1], v[6:7], 3, v[0:1]
	global_load_dwordx2 v[20:21], v[2:3], off
	global_load_dwordx2 v[6:7], v[0:1], off
.LBB0_14:
	s_or_b64 exec, exec, s[8:9]
	v_mov_b32_e32 v44, v45
.LBB0_15:
	s_or_b64 exec, exec, s[2:3]
	s_waitcnt vmcnt(8)
	v_sub_f32_e32 v35, v4, v14
	s_waitcnt vmcnt(6)
	v_sub_f32_e32 v37, v12, v16
	;; [unrolled: 2-line block ×5, first 2 shown]
	v_pk_add_f32 v[28:29], v[20:21], v[6:7] neg_lo:[0,1] neg_hi:[0,1]
	v_add_u32_e32 v0, 0x226, v45
	v_fma_f32 v34, v4, 2.0, -v35
	v_fma_f32 v36, v12, 2.0, -v37
	;; [unrolled: 1-line block ×6, first 2 shown]
	v_lshl_add_u32 v1, v45, 3, 0
	v_lshl_add_u32 v18, v49, 3, 0
	;; [unrolled: 1-line block ×5, first 2 shown]
	v_cmp_gt_u32_e64 s[2:3], 55, v45
	v_lshl_add_u32 v4, v0, 3, 0
	ds_write_b64 v1, v[34:35]
	ds_write_b64 v18, v[36:37]
	;; [unrolled: 1-line block ×5, first 2 shown]
	s_and_saveexec_b64 s[0:1], s[2:3]
	s_cbranch_execz .LBB0_17
; %bb.16:
	v_mov_b32_e32 v3, v28
	ds_write_b64 v4, v[2:3]
.LBB0_17:
	s_or_b64 exec, exec, s[0:1]
	v_lshlrev_b32_e32 v20, 2, v45
	v_sub_u32_e32 v22, v1, v20
	v_add_u32_e32 v0, 0x400, v22
	s_waitcnt lgkmcnt(0)
	s_barrier
	ds_read2_b32 v[38:39], v0 offset0:96 offset1:228
	v_add_u32_e32 v0, 0x800, v22
	ds_read2_b32 v[36:37], v0 offset0:82 offset1:214
	v_add_u32_e32 v0, 0xc00, v22
	ds_read2_b32 v[34:35], v0 offset0:68 offset1:200
	v_lshlrev_b32_e32 v0, 2, v49
	v_sub_u32_e32 v3, v18, v0
	ds_read2_b32 v[6:7], v22 offset1:242
	ds_read_b32 v3, v3
	ds_read_b32 v53, v22 offset:4312
	v_sub_u32_e32 v20, 0, v20
	v_cmp_gt_u32_e64 s[0:1], 22, v45
	v_add_u32_e32 v30, v1, v20
	v_lshlrev_b32_e32 v24, 2, v46
                                        ; implicit-def: $vgpr41
                                        ; implicit-def: $vgpr43
	s_and_saveexec_b64 s[8:9], s[0:1]
	s_cbranch_execz .LBB0_19
; %bb.18:
	v_add_u32_e32 v20, 0x720, v30
	v_sub_u32_e32 v2, v16, v24
	ds_read2_b32 v[42:43], v20 offset0:6 offset1:248
	v_add_u32_e32 v20, 0xec0, v30
	ds_read_b32 v2, v2
	ds_read2_b32 v[40:41], v20 offset0:2 offset1:244
	s_waitcnt lgkmcnt(2)
	v_mov_b32_e32 v28, v42
.LBB0_19:
	s_or_b64 exec, exec, s[8:9]
	v_sub_f32_e32 v51, v5, v15
	v_sub_u32_e32 v22, 0, v0
	v_fma_f32 v50, v5, 2.0, -v51
	v_sub_f32_e32 v55, v13, v17
	v_sub_f32_e32 v27, v23, v27
	;; [unrolled: 1-line block ×4, first 2 shown]
	v_fma_f32 v0, v21, 2.0, -v29
	v_fma_f32 v54, v13, 2.0, -v55
	;; [unrolled: 1-line block ×5, first 2 shown]
	s_waitcnt lgkmcnt(0)
	s_barrier
	ds_write_b64 v1, v[50:51]
	ds_write_b64 v18, v[54:55]
	;; [unrolled: 1-line block ×5, first 2 shown]
	s_and_saveexec_b64 s[8:9], s[2:3]
	s_cbranch_execz .LBB0_21
; %bb.20:
	v_mov_b32_e32 v1, v29
	ds_write_b64 v4, v[0:1]
.LBB0_21:
	s_or_b64 exec, exec, s[8:9]
	v_add_u32_e32 v1, 0x400, v30
	s_waitcnt lgkmcnt(0)
	s_barrier
	ds_read2_b32 v[20:21], v1 offset0:96 offset1:228
	v_add_u32_e32 v1, 0x800, v30
	ds_read2_b32 v[12:13], v1 offset0:82 offset1:214
	v_add_u32_e32 v1, 0xc00, v30
	v_add_u32_e32 v23, v18, v22
	ds_read2_b32 v[4:5], v30 offset1:242
	ds_read2_b32 v[14:15], v1 offset0:68 offset1:200
	ds_read_b32 v22, v23
	ds_read_b32 v54, v30 offset:4312
                                        ; implicit-def: $vgpr17
                                        ; implicit-def: $vgpr19
	s_and_saveexec_b64 s[2:3], s[0:1]
	s_cbranch_execz .LBB0_23
; %bb.22:
	v_add_u32_e32 v1, 0x720, v30
	v_sub_u32_e32 v0, v16, v24
	ds_read2_b32 v[18:19], v1 offset0:6 offset1:248
	v_add_u32_e32 v1, 0xec0, v30
	ds_read_b32 v0, v0
	ds_read2_b32 v[16:17], v1 offset0:2 offset1:244
	s_waitcnt lgkmcnt(2)
	v_mov_b32_e32 v29, v18
.LBB0_23:
	s_or_b64 exec, exec, s[2:3]
	v_and_b32_e32 v18, 1, v45
	v_lshlrev_b32_e32 v1, 5, v18
	global_load_dwordx4 v[56:59], v1, s[4:5]
	global_load_dwordx4 v[60:63], v1, s[4:5] offset:16
	s_waitcnt lgkmcnt(0)
	s_barrier
	s_waitcnt vmcnt(1)
	v_mul_f32_e32 v64, v21, v59
	v_mul_f32_e32 v50, v39, v59
	s_waitcnt vmcnt(0)
	v_mul_f32_e32 v65, v13, v61
	v_mul_f32_e32 v55, v5, v57
	;; [unrolled: 1-line block ×9, first 2 shown]
	v_fma_f32 v39, v39, v58, -v64
	v_fmac_f32_e32 v50, v21, v58
	v_fma_f32 v21, v37, v60, -v65
	v_mul_f32_e32 v67, v20, v57
	v_mul_f32_e32 v25, v36, v59
	;; [unrolled: 1-line block ×11, first 2 shown]
	v_fmac_f32_e32 v1, v20, v56
	v_fma_f32 v20, v36, v58, -v68
	v_fma_f32 v36, v7, v56, -v55
	v_fmac_f32_e32 v42, v5, v56
	v_fmac_f32_e32 v51, v13, v60
	v_fma_f32 v13, v35, v62, -v66
	v_fmac_f32_e32 v52, v15, v62
	v_fmac_f32_e32 v31, v17, v62
	v_add_f32_e32 v17, v39, v21
	v_mul_f32_e32 v70, v54, v63
	v_mul_f32_e32 v33, v53, v63
	v_fma_f32 v5, v34, v60, -v69
	v_fmac_f32_e32 v32, v14, v60
	v_fma_f32 v14, v28, v56, -v71
	v_fmac_f32_e32 v26, v19, v58
	v_fma_f32 v19, v40, v60, -v59
	v_fmac_f32_e32 v27, v16, v60
	v_fma_f32 v16, v41, v62, -v61
	v_sub_f32_e32 v28, v42, v52
	v_sub_f32_e32 v34, v36, v39
	;; [unrolled: 1-line block ×5, first 2 shown]
	v_fma_f32 v17, -0.5, v17, v6
	v_fma_f32 v38, v38, v56, -v67
	v_fma_f32 v7, v53, v62, -v70
	v_fmac_f32_e32 v33, v54, v62
	v_fmac_f32_e32 v24, v29, v56
	v_sub_f32_e32 v29, v50, v51
	v_add_f32_e32 v37, v36, v13
	v_add_f32_e32 v53, v20, v5
	;; [unrolled: 1-line block ×4, first 2 shown]
	v_fmamk_f32 v40, v28, 0x3f737871, v17
	v_fmac_f32_e32 v17, 0xbf737871, v28
	v_fmac_f32_e32 v25, v12, v58
	v_fma_f32 v15, v43, v58, -v57
	v_add_f32_e32 v12, v6, v36
	v_add_f32_e32 v43, v3, v38
	v_sub_f32_e32 v54, v1, v33
	v_fmac_f32_e32 v6, -0.5, v37
	v_fma_f32 v41, -0.5, v53, v3
	v_fmac_f32_e32 v40, 0x3f167918, v29
	v_fmac_f32_e32 v17, 0xbf167918, v29
	v_sub_f32_e32 v55, v25, v32
	v_add_f32_e32 v37, v43, v20
	v_fmamk_f32 v43, v29, 0xbf737871, v6
	v_fmac_f32_e32 v6, 0x3f737871, v29
	v_fmamk_f32 v53, v54, 0x3f737871, v41
	v_fmac_f32_e32 v40, 0x3e9e377a, v34
	v_fmac_f32_e32 v17, 0x3e9e377a, v34
	v_sub_f32_e32 v29, v38, v20
	v_sub_f32_e32 v34, v7, v5
	v_fmac_f32_e32 v41, 0xbf737871, v54
	v_fmac_f32_e32 v53, 0x3f167918, v55
	v_add_f32_e32 v29, v29, v34
	v_fmac_f32_e32 v41, 0xbf167918, v55
	v_fmac_f32_e32 v53, 0x3e9e377a, v29
	;; [unrolled: 1-line block ×3, first 2 shown]
	v_add_f32_e32 v29, v38, v7
	v_fmac_f32_e32 v43, 0x3f167918, v28
	v_fmac_f32_e32 v6, 0xbf167918, v28
	v_fmac_f32_e32 v3, -0.5, v29
	v_fmac_f32_e32 v43, 0x3e9e377a, v35
	v_fmac_f32_e32 v6, 0x3e9e377a, v35
	v_fmamk_f32 v29, v55, 0xbf737871, v3
	v_sub_f32_e32 v34, v20, v38
	v_sub_f32_e32 v35, v5, v7
	v_fmac_f32_e32 v3, 0x3f737871, v55
	v_fmac_f32_e32 v29, 0x3f167918, v54
	v_add_f32_e32 v34, v34, v35
	v_fmac_f32_e32 v3, 0xbf167918, v54
	v_fmac_f32_e32 v29, 0x3e9e377a, v34
	;; [unrolled: 1-line block ×3, first 2 shown]
	v_lshrrev_b32_e32 v34, 1, v45
	v_add_f32_e32 v12, v12, v39
	v_mul_u32_u24_e32 v34, 10, v34
	v_add_f32_e32 v12, v12, v21
	v_add_f32_e32 v37, v37, v5
	v_or_b32_e32 v34, v34, v18
	v_add_f32_e32 v12, v12, v13
	v_add_f32_e32 v28, v37, v7
	v_lshl_add_u32 v37, v34, 2, 0
	ds_write2_b32 v37, v12, v40 offset1:2
	ds_write2_b32 v37, v43, v6 offset0:4 offset1:6
	ds_write_b32 v37, v17 offset:32
	v_lshrrev_b32_e32 v6, 1, v49
	v_mul_lo_u32 v6, v6, 10
	v_or_b32_e32 v6, v6, v18
	v_lshl_add_u32 v40, v6, 2, 0
	v_lshrrev_b32_e32 v34, 1, v46
	ds_write2_b32 v40, v28, v53 offset1:2
	ds_write2_b32 v40, v29, v3 offset0:4 offset1:6
	ds_write_b32 v40, v41 offset:32
	s_and_saveexec_b64 s[2:3], s[0:1]
	s_cbranch_execz .LBB0_25
; %bb.24:
	v_sub_f32_e32 v3, v15, v14
	v_sub_f32_e32 v6, v19, v16
	v_add_f32_e32 v3, v3, v6
	v_add_f32_e32 v6, v14, v16
	v_fma_f32 v6, -0.5, v6, v2
	v_sub_f32_e32 v12, v26, v27
	v_fmamk_f32 v17, v12, 0x3f737871, v6
	v_sub_f32_e32 v28, v24, v31
	v_fmac_f32_e32 v6, 0xbf737871, v12
	v_fmac_f32_e32 v17, 0xbf167918, v28
	;; [unrolled: 1-line block ×5, first 2 shown]
	v_sub_f32_e32 v3, v14, v15
	v_sub_f32_e32 v29, v16, v19
	v_add_f32_e32 v3, v3, v29
	v_add_f32_e32 v29, v15, v19
	v_fma_f32 v29, -0.5, v29, v2
	v_fmamk_f32 v35, v28, 0xbf737871, v29
	v_fmac_f32_e32 v29, 0x3f737871, v28
	v_fmac_f32_e32 v35, 0xbf167918, v12
	;; [unrolled: 1-line block ×3, first 2 shown]
	v_add_f32_e32 v2, v2, v14
	v_fmac_f32_e32 v35, 0x3e9e377a, v3
	v_fmac_f32_e32 v29, 0x3e9e377a, v3
	v_add_f32_e32 v2, v2, v15
	v_mul_lo_u32 v3, v34, 10
	v_add_f32_e32 v2, v2, v19
	v_or_b32_e32 v3, v3, v18
	v_add_f32_e32 v2, v2, v16
	v_lshl_add_u32 v3, v3, 2, 0
	ds_write2_b32 v3, v2, v29 offset1:2
	ds_write2_b32 v3, v6, v17 offset0:4 offset1:6
	ds_write_b32 v3, v35 offset:32
.LBB0_25:
	s_or_b64 exec, exec, s[2:3]
	v_add_f32_e32 v2, v4, v42
	v_add_f32_e32 v2, v2, v50
	;; [unrolled: 1-line block ×5, first 2 shown]
	v_fma_f32 v43, -0.5, v2, v4
	v_sub_f32_e32 v2, v36, v13
	v_fmamk_f32 v36, v2, 0xbf737871, v43
	v_sub_f32_e32 v3, v39, v21
	v_sub_f32_e32 v6, v42, v50
	;; [unrolled: 1-line block ×3, first 2 shown]
	v_fmac_f32_e32 v43, 0x3f737871, v2
	v_fmac_f32_e32 v36, 0xbf167918, v3
	v_add_f32_e32 v6, v6, v12
	v_fmac_f32_e32 v43, 0x3f167918, v3
	v_fmac_f32_e32 v36, 0x3e9e377a, v6
	;; [unrolled: 1-line block ×3, first 2 shown]
	v_add_f32_e32 v6, v42, v52
	v_fmac_f32_e32 v4, -0.5, v6
	v_fmamk_f32 v39, v3, 0x3f737871, v4
	v_fmac_f32_e32 v4, 0xbf737871, v3
	v_fmac_f32_e32 v39, 0xbf167918, v2
	;; [unrolled: 1-line block ×3, first 2 shown]
	v_add_f32_e32 v2, v22, v1
	v_add_f32_e32 v2, v2, v25
	;; [unrolled: 1-line block ×3, first 2 shown]
	v_sub_f32_e32 v6, v50, v42
	v_sub_f32_e32 v12, v51, v52
	v_add_f32_e32 v42, v2, v33
	v_add_f32_e32 v2, v25, v32
	v_add_f32_e32 v6, v6, v12
	v_fma_f32 v49, -0.5, v2, v22
	v_sub_f32_e32 v2, v38, v7
	v_fmac_f32_e32 v39, 0x3e9e377a, v6
	v_fmac_f32_e32 v4, 0x3e9e377a, v6
	v_fmamk_f32 v38, v2, 0xbf737871, v49
	v_sub_f32_e32 v3, v20, v5
	v_sub_f32_e32 v5, v1, v25
	;; [unrolled: 1-line block ×3, first 2 shown]
	v_fmac_f32_e32 v49, 0x3f737871, v2
	v_fmac_f32_e32 v38, 0xbf167918, v3
	v_add_f32_e32 v5, v5, v6
	v_fmac_f32_e32 v49, 0x3f167918, v3
	v_fmac_f32_e32 v38, 0x3e9e377a, v5
	;; [unrolled: 1-line block ×3, first 2 shown]
	v_add_f32_e32 v5, v1, v33
	v_fmac_f32_e32 v22, -0.5, v5
	v_fmamk_f32 v50, v3, 0x3f737871, v22
	v_sub_f32_e32 v1, v25, v1
	v_sub_f32_e32 v5, v32, v33
	v_fmac_f32_e32 v22, 0xbf737871, v3
	v_lshl_add_u32 v13, v46, 2, 0
	v_fmac_f32_e32 v50, 0xbf167918, v2
	v_add_f32_e32 v1, v1, v5
	v_fmac_f32_e32 v22, 0x3f167918, v2
	s_waitcnt lgkmcnt(0)
	s_barrier
	v_lshl_add_u32 v21, v47, 2, 0
	v_lshl_add_u32 v25, v48, 2, 0
	ds_read_b32 v32, v13
	ds_read_b32 v29, v21
	;; [unrolled: 1-line block ×3, first 2 shown]
	v_lshl_add_u32 v17, v45, 2, 0
	ds_read_b32 v20, v30 offset:4400
	ds_read_b32 v12, v30
	ds_read_b32 v35, v23
	ds_read_b32 v33, v17 offset:2200
	v_fmac_f32_e32 v50, 0x3e9e377a, v1
	v_fmac_f32_e32 v22, 0x3e9e377a, v1
	v_add_u32_e32 v1, 0xa00, v30
	v_add_u32_e32 v5, 0xc00, v30
	ds_read2_b32 v[6:7], v1 offset0:20 offset1:130
	ds_read2_b32 v[2:3], v5 offset0:112 offset1:222
	s_waitcnt lgkmcnt(0)
	s_barrier
	ds_write2_b32 v37, v41, v36 offset1:2
	ds_write2_b32 v37, v39, v4 offset0:4 offset1:6
	ds_write_b32 v37, v43 offset:32
	ds_write2_b32 v40, v42, v38 offset1:2
	ds_write2_b32 v40, v50, v22 offset0:4 offset1:6
	ds_write_b32 v40, v49 offset:32
	s_and_saveexec_b64 s[2:3], s[0:1]
	s_cbranch_execz .LBB0_27
; %bb.26:
	v_add_f32_e32 v22, v26, v27
	v_fma_f32 v22, -0.5, v22, v0
	v_sub_f32_e32 v14, v14, v16
	v_fmamk_f32 v16, v14, 0xbf737871, v22
	v_sub_f32_e32 v15, v15, v19
	v_sub_f32_e32 v19, v24, v26
	;; [unrolled: 1-line block ×3, first 2 shown]
	v_fmac_f32_e32 v22, 0x3f737871, v14
	v_fmac_f32_e32 v16, 0xbf167918, v15
	v_add_f32_e32 v19, v19, v36
	v_fmac_f32_e32 v22, 0x3f167918, v15
	v_fmac_f32_e32 v16, 0x3e9e377a, v19
	;; [unrolled: 1-line block ×3, first 2 shown]
	v_add_f32_e32 v19, v24, v31
	v_add_f32_e32 v4, v0, v24
	v_fmac_f32_e32 v0, -0.5, v19
	v_fmamk_f32 v19, v15, 0x3f737871, v0
	v_fmac_f32_e32 v0, 0xbf737871, v15
	v_add_f32_e32 v4, v4, v26
	v_fmac_f32_e32 v19, 0xbf167918, v14
	v_fmac_f32_e32 v0, 0x3f167918, v14
	v_mul_lo_u32 v14, v34, 10
	v_add_f32_e32 v4, v4, v27
	v_sub_f32_e32 v24, v26, v24
	v_sub_f32_e32 v26, v27, v31
	v_or_b32_e32 v14, v14, v18
	v_add_f32_e32 v4, v4, v31
	v_add_f32_e32 v24, v24, v26
	v_lshl_add_u32 v14, v14, 2, 0
	v_fmac_f32_e32 v19, 0x3e9e377a, v24
	v_fmac_f32_e32 v0, 0x3e9e377a, v24
	ds_write2_b32 v14, v4, v16 offset1:2
	ds_write2_b32 v14, v19, v0 offset0:4 offset1:6
	ds_write_b32 v14, v22 offset:32
.LBB0_27:
	s_or_b64 exec, exec, s[2:3]
	s_movk_i32 s0, 0xcd
	v_mul_lo_u16_sdwa v0, v45, s0 dst_sel:DWORD dst_unused:UNUSED_PAD src0_sel:BYTE_0 src1_sel:DWORD
	v_lshrrev_b16_e32 v0, 11, v0
	v_mul_lo_u16_e32 v4, 10, v0
	v_sub_u16_e32 v4, v45, v4
	v_mov_b32_e32 v14, 10
	v_mul_u32_u24_sdwa v14, v4, v14 dst_sel:DWORD dst_unused:UNUSED_PAD src0_sel:BYTE_0 src1_sel:DWORD
	v_lshlrev_b32_e32 v14, 3, v14
	s_waitcnt lgkmcnt(0)
	s_barrier
	global_load_dwordx4 v[36:39], v14, s[4:5] offset:64
	global_load_dwordx4 v[40:43], v14, s[4:5] offset:80
	;; [unrolled: 1-line block ×5, first 2 shown]
	ds_read_b32 v16, v13
	ds_read_b32 v22, v21
	;; [unrolled: 1-line block ×4, first 2 shown]
	ds_read_b32 v27, v17 offset:2200
	ds_read2_b32 v[14:15], v1 offset0:20 offset1:130
	ds_read2_b32 v[18:19], v5 offset0:112 offset1:222
	ds_read_b32 v31, v30
	ds_read_b32 v34, v30 offset:4400
	s_mov_b32 s0, 0x3f575c64
	s_mov_b32 s8, 0x3ed4b147
	s_mov_b32 s12, 0xbe11bafb
	s_mov_b32 s18, 0xbf27a4f4
	s_mov_b32 s22, 0xbf75a155
	v_mul_u32_u24_e32 v0, 0x1b8, v0
	s_waitcnt lgkmcnt(0)
	s_barrier
	s_mov_b32 s2, 0xbf0a6770
	s_mov_b32 s34, 0xbf68dda4
	;; [unrolled: 1-line block ×9, first 2 shown]
	s_waitcnt vmcnt(4)
	v_mul_f32_e32 v58, v26, v37
	v_mul_f32_e32 v37, v35, v37
	;; [unrolled: 1-line block ×4, first 2 shown]
	s_waitcnt vmcnt(2)
	v_mul_f32_e32 v63, v14, v49
	v_mul_f32_e32 v49, v6, v49
	v_fmac_f32_e32 v37, v26, v36
	v_fmac_f32_e32 v39, v16, v38
	s_waitcnt vmcnt(0)
	v_mul_f32_e32 v16, v34, v57
	v_mul_f32_e32 v60, v22, v41
	;; [unrolled: 1-line block ×5, first 2 shown]
	v_fma_f32 v35, v35, v36, -v58
	v_fmac_f32_e32 v49, v14, v48
	v_fma_f32 v14, v20, v56, -v16
	v_add_f32_e32 v16, v31, v37
	v_mul_f32_e32 v61, v24, v43
	v_mul_f32_e32 v43, v28, v43
	v_fma_f32 v32, v32, v38, -v59
	v_fmac_f32_e32 v41, v22, v40
	v_fmac_f32_e32 v51, v15, v50
	v_add_f32_e32 v15, v12, v35
	v_add_f32_e32 v16, v16, v39
	v_mul_f32_e32 v62, v27, v47
	v_mul_f32_e32 v47, v33, v47
	v_fma_f32 v29, v29, v40, -v60
	v_fmac_f32_e32 v43, v24, v42
	v_add_f32_e32 v15, v15, v32
	v_add_f32_e32 v16, v16, v41
	v_fma_f32 v22, v28, v42, -v61
	v_fmac_f32_e32 v47, v27, v46
	v_add_f32_e32 v15, v15, v29
	v_add_f32_e32 v16, v16, v43
	v_fma_f32 v24, v33, v46, -v62
	v_add_f32_e32 v15, v15, v22
	v_add_f32_e32 v16, v16, v47
	v_mul_f32_e32 v65, v18, v53
	v_mul_f32_e32 v53, v2, v53
	v_fma_f32 v6, v6, v48, -v63
	v_add_f32_e32 v15, v15, v24
	v_add_f32_e32 v16, v16, v49
	v_mul_f32_e32 v36, v3, v55
	v_mul_f32_e32 v38, v20, v57
	v_fma_f32 v7, v7, v50, -v64
	v_fmac_f32_e32 v53, v18, v52
	v_add_f32_e32 v15, v15, v6
	v_add_f32_e32 v16, v16, v51
	v_mul_f32_e32 v26, v19, v55
	v_fma_f32 v2, v2, v52, -v65
	v_fmac_f32_e32 v36, v19, v54
	v_fmac_f32_e32 v38, v34, v56
	v_add_f32_e32 v15, v15, v7
	v_add_f32_e32 v16, v16, v53
	v_fma_f32 v3, v3, v54, -v26
	v_sub_f32_e32 v20, v35, v14
	v_sub_f32_e32 v26, v37, v38
	v_add_f32_e32 v15, v15, v2
	v_add_f32_e32 v16, v16, v36
	;; [unrolled: 1-line block ×4, first 2 shown]
	v_mul_f32_e32 v27, 0xbf0a6770, v26
	v_mul_f32_e32 v28, 0xbf0a6770, v20
	v_add_f32_e32 v15, v15, v3
	v_add_f32_e32 v35, v16, v38
	v_mul_f32_e32 v16, 0xbf68dda4, v26
	v_mul_f32_e32 v40, 0xbf7d64f0, v26
	;; [unrolled: 1-line block ×4, first 2 shown]
	v_fma_f32 v33, v18, s0, -v27
	v_fmamk_f32 v34, v19, 0x3f575c64, v28
	v_fmac_f32_e32 v27, 0x3f575c64, v18
	v_add_f32_e32 v14, v15, v14
	v_fma_f32 v15, v19, s0, -v28
	v_fma_f32 v28, v18, s8, -v16
	v_mul_f32_e32 v37, 0xbf68dda4, v20
	v_fmac_f32_e32 v16, 0x3ed4b147, v18
	v_fma_f32 v42, v18, s12, -v40
	v_mul_f32_e32 v46, 0xbf7d64f0, v20
	v_fmac_f32_e32 v40, 0xbe11bafb, v18
	v_fma_f32 v52, v18, s18, -v50
	v_mul_f32_e32 v54, 0xbf4178ce, v20
	v_fmac_f32_e32 v50, 0xbf27a4f4, v18
	v_fma_f32 v56, v18, s22, -v26
	v_mul_f32_e32 v20, 0xbe903f40, v20
	v_fmac_f32_e32 v26, 0xbf75a155, v18
	v_add_f32_e32 v33, v12, v33
	v_add_f32_e32 v27, v12, v27
	;; [unrolled: 1-line block ×3, first 2 shown]
	v_fmamk_f32 v38, v19, 0x3ed4b147, v37
	v_add_f32_e32 v16, v12, v16
	v_fma_f32 v37, v19, s8, -v37
	v_add_f32_e32 v42, v12, v42
	v_fmamk_f32 v48, v19, 0xbe11bafb, v46
	v_add_f32_e32 v40, v12, v40
	v_fma_f32 v46, v19, s12, -v46
	v_add_f32_e32 v52, v12, v52
	;; [unrolled: 4-line block ×3, first 2 shown]
	v_fmamk_f32 v57, v19, 0xbf75a155, v20
	v_add_f32_e32 v12, v12, v26
	v_fma_f32 v18, v19, s22, -v20
	v_sub_f32_e32 v26, v39, v36
	v_add_f32_e32 v34, v31, v34
	v_add_f32_e32 v15, v31, v15
	;; [unrolled: 1-line block ×11, first 2 shown]
	v_mul_f32_e32 v31, 0xbf68dda4, v26
	v_sub_f32_e32 v3, v32, v3
	v_fma_f32 v32, v19, s8, -v31
	v_add_f32_e32 v20, v39, v36
	v_add_f32_e32 v32, v32, v33
	v_mul_f32_e32 v33, 0xbf68dda4, v3
	v_fmac_f32_e32 v31, 0x3ed4b147, v19
	v_add_f32_e32 v27, v31, v27
	v_fma_f32 v31, v20, s8, -v33
	v_add_f32_e32 v15, v31, v15
	v_mul_f32_e32 v31, 0xbf4178ce, v26
	v_fmamk_f32 v36, v20, 0x3ed4b147, v33
	v_fma_f32 v33, v19, s18, -v31
	v_add_f32_e32 v28, v33, v28
	v_mul_f32_e32 v33, 0xbf4178ce, v3
	v_fmac_f32_e32 v31, 0xbf27a4f4, v19
	v_add_f32_e32 v34, v36, v34
	v_fmamk_f32 v36, v20, 0xbf27a4f4, v33
	v_add_f32_e32 v16, v31, v16
	v_fma_f32 v31, v20, s18, -v33
	v_mul_f32_e32 v33, 0x3e903f40, v26
	v_add_f32_e32 v36, v36, v38
	v_add_f32_e32 v31, v31, v37
	v_fma_f32 v37, v19, s22, -v33
	v_mul_f32_e32 v38, 0x3e903f40, v3
	v_fmac_f32_e32 v33, 0xbf75a155, v19
	v_fmamk_f32 v39, v20, 0xbf75a155, v38
	v_add_f32_e32 v33, v33, v40
	v_fma_f32 v38, v20, s22, -v38
	v_mul_f32_e32 v40, 0x3f7d64f0, v26
	v_add_f32_e32 v37, v37, v42
	v_add_f32_e32 v38, v38, v46
	v_fma_f32 v42, v19, s12, -v40
	v_mul_f32_e32 v46, 0x3f7d64f0, v3
	v_fmac_f32_e32 v40, 0xbe11bafb, v19
	v_mul_f32_e32 v26, 0x3f0a6770, v26
	v_mul_f32_e32 v3, 0x3f0a6770, v3
	v_add_f32_e32 v39, v39, v48
	v_add_f32_e32 v42, v42, v52
	v_fmamk_f32 v48, v20, 0xbe11bafb, v46
	v_add_f32_e32 v40, v40, v50
	v_fma_f32 v46, v20, s12, -v46
	v_fma_f32 v50, v19, s0, -v26
	v_fmamk_f32 v52, v20, 0x3f575c64, v3
	v_fmac_f32_e32 v26, 0x3f575c64, v19
	v_fma_f32 v3, v20, s0, -v3
	v_sub_f32_e32 v20, v41, v53
	v_add_f32_e32 v12, v26, v12
	v_add_f32_e32 v3, v3, v18
	;; [unrolled: 1-line block ×3, first 2 shown]
	v_mul_f32_e32 v26, 0xbf7d64f0, v20
	v_sub_f32_e32 v2, v29, v2
	v_fma_f32 v29, v18, s12, -v26
	v_add_f32_e32 v19, v41, v53
	v_add_f32_e32 v29, v29, v32
	v_mul_f32_e32 v32, 0xbf7d64f0, v2
	v_fmac_f32_e32 v26, 0xbe11bafb, v18
	v_add_f32_e32 v26, v26, v27
	v_fma_f32 v27, v19, s12, -v32
	v_add_f32_e32 v15, v27, v15
	v_mul_f32_e32 v27, 0x3e903f40, v20
	v_fmamk_f32 v41, v19, 0xbe11bafb, v32
	v_fma_f32 v32, v18, s22, -v27
	v_add_f32_e32 v28, v32, v28
	v_mul_f32_e32 v32, 0x3e903f40, v2
	v_fmac_f32_e32 v27, 0xbf75a155, v18
	v_add_f32_e32 v16, v27, v16
	v_fma_f32 v27, v19, s22, -v32
	v_add_f32_e32 v27, v27, v31
	v_mul_f32_e32 v31, 0x3f68dda4, v20
	v_add_f32_e32 v34, v41, v34
	v_fmamk_f32 v41, v19, 0xbf75a155, v32
	v_fma_f32 v32, v18, s8, -v31
	v_add_f32_e32 v32, v32, v37
	v_mul_f32_e32 v37, 0x3f68dda4, v2
	v_fmac_f32_e32 v31, 0x3ed4b147, v18
	v_add_f32_e32 v36, v41, v36
	v_fmamk_f32 v41, v19, 0x3ed4b147, v37
	v_add_f32_e32 v31, v31, v33
	v_fma_f32 v33, v19, s8, -v37
	v_mul_f32_e32 v37, 0xbf0a6770, v20
	v_add_f32_e32 v39, v41, v39
	v_add_f32_e32 v33, v33, v38
	v_fma_f32 v38, v18, s0, -v37
	v_mul_f32_e32 v41, 0xbf0a6770, v2
	v_fmac_f32_e32 v37, 0x3f575c64, v18
	v_add_f32_e32 v46, v46, v54
	v_add_f32_e32 v37, v37, v40
	v_fma_f32 v40, v19, s0, -v41
	v_mul_f32_e32 v20, 0xbf4178ce, v20
	v_mul_f32_e32 v2, 0xbf4178ce, v2
	v_add_f32_e32 v38, v38, v42
	v_fmamk_f32 v42, v19, 0x3f575c64, v41
	v_add_f32_e32 v40, v40, v46
	v_fma_f32 v41, v18, s18, -v20
	v_fmamk_f32 v46, v19, 0xbf27a4f4, v2
	v_fmac_f32_e32 v20, 0xbf27a4f4, v18
	v_fma_f32 v2, v19, s18, -v2
	v_sub_f32_e32 v19, v43, v51
	v_add_f32_e32 v12, v20, v12
	v_add_f32_e32 v2, v2, v3
	;; [unrolled: 1-line block ×3, first 2 shown]
	v_mul_f32_e32 v20, 0xbf4178ce, v19
	v_sub_f32_e32 v7, v22, v7
	v_fma_f32 v22, v3, s18, -v20
	v_add_f32_e32 v18, v43, v51
	v_add_f32_e32 v22, v22, v29
	v_mul_f32_e32 v29, 0xbf4178ce, v7
	v_fmac_f32_e32 v20, 0xbf27a4f4, v3
	v_add_f32_e32 v20, v20, v26
	v_fma_f32 v26, v18, s18, -v29
	v_add_f32_e32 v15, v26, v15
	v_mul_f32_e32 v26, 0x3f7d64f0, v19
	v_fmamk_f32 v43, v18, 0xbf27a4f4, v29
	v_fma_f32 v29, v3, s12, -v26
	v_add_f32_e32 v28, v29, v28
	v_mul_f32_e32 v29, 0x3f7d64f0, v7
	v_fmac_f32_e32 v26, 0xbe11bafb, v3
	v_add_f32_e32 v16, v26, v16
	v_fma_f32 v26, v18, s12, -v29
	v_add_f32_e32 v26, v26, v27
	v_mul_f32_e32 v27, 0xbf0a6770, v19
	v_add_f32_e32 v34, v43, v34
	v_fmamk_f32 v43, v18, 0xbe11bafb, v29
	v_fma_f32 v29, v3, s0, -v27
	v_add_f32_e32 v29, v29, v32
	v_mul_f32_e32 v32, 0xbf0a6770, v7
	v_fmac_f32_e32 v27, 0x3f575c64, v3
	v_add_f32_e32 v36, v43, v36
	v_fmamk_f32 v43, v18, 0x3f575c64, v32
	v_add_f32_e32 v27, v27, v31
	v_fma_f32 v31, v18, s0, -v32
	v_mul_f32_e32 v32, 0xbe903f40, v19
	v_add_f32_e32 v31, v31, v33
	v_fma_f32 v33, v3, s22, -v32
	v_add_f32_e32 v33, v33, v38
	v_mul_f32_e32 v38, 0xbe903f40, v7
	v_fmac_f32_e32 v32, 0xbf75a155, v3
	v_add_f32_e32 v32, v32, v37
	v_fma_f32 v37, v18, s22, -v38
	v_mul_f32_e32 v19, 0x3f68dda4, v19
	v_mul_f32_e32 v7, 0x3f68dda4, v7
	v_add_f32_e32 v39, v43, v39
	v_fmamk_f32 v43, v18, 0xbf75a155, v38
	v_add_f32_e32 v37, v37, v40
	v_fma_f32 v38, v3, s8, -v19
	v_fmamk_f32 v40, v18, 0x3ed4b147, v7
	v_fmac_f32_e32 v19, 0x3ed4b147, v3
	v_fma_f32 v7, v18, s8, -v7
	v_sub_f32_e32 v18, v47, v49
	v_add_f32_e32 v3, v19, v12
	v_add_f32_e32 v2, v7, v2
	;; [unrolled: 1-line block ×3, first 2 shown]
	v_mul_f32_e32 v19, 0xbe903f40, v18
	v_add_f32_e32 v50, v50, v56
	v_sub_f32_e32 v6, v24, v6
	v_fma_f32 v24, v7, s22, -v19
	v_add_f32_e32 v41, v41, v50
	v_add_f32_e32 v12, v47, v49
	;; [unrolled: 1-line block ×3, first 2 shown]
	v_mul_f32_e32 v24, 0xbe903f40, v6
	v_fmac_f32_e32 v19, 0xbf75a155, v7
	v_add_f32_e32 v38, v38, v41
	v_fmamk_f32 v41, v12, 0xbf75a155, v24
	v_add_f32_e32 v19, v19, v20
	v_fma_f32 v20, v12, s22, -v24
	v_add_f32_e32 v34, v41, v34
	v_add_f32_e32 v41, v20, v15
	v_mul_f32_e32 v15, 0x3f0a6770, v18
	v_add_f32_e32 v48, v48, v55
	v_fma_f32 v20, v7, s0, -v15
	v_mul_f32_e32 v24, 0x3f0a6770, v6
	v_fmac_f32_e32 v15, 0x3f575c64, v7
	v_add_f32_e32 v42, v42, v48
	v_add_f32_e32 v15, v15, v16
	v_fma_f32 v16, v12, s0, -v24
	v_add_f32_e32 v42, v43, v42
	v_add_f32_e32 v20, v20, v28
	v_fmamk_f32 v28, v12, 0x3f575c64, v24
	v_add_f32_e32 v43, v16, v26
	v_mul_f32_e32 v16, 0xbf4178ce, v18
	v_mul_f32_e32 v26, 0xbf4178ce, v6
	v_add_f32_e32 v36, v28, v36
	v_fma_f32 v24, v7, s18, -v16
	v_fmamk_f32 v28, v12, 0xbf27a4f4, v26
	v_fmac_f32_e32 v16, 0xbf27a4f4, v7
	v_fma_f32 v26, v12, s18, -v26
	v_add_f32_e32 v16, v16, v27
	v_add_f32_e32 v27, v26, v31
	v_mul_f32_e32 v26, 0x3f68dda4, v18
	v_add_f32_e32 v24, v24, v29
	v_add_f32_e32 v29, v28, v39
	v_fma_f32 v28, v7, s8, -v26
	v_mul_f32_e32 v31, 0x3f68dda4, v6
	v_add_f32_e32 v28, v28, v33
	v_fmamk_f32 v33, v12, 0x3ed4b147, v31
	v_fma_f32 v31, v12, s8, -v31
	v_mul_f32_e32 v6, 0xbf7d64f0, v6
	v_add_f32_e32 v31, v31, v37
	v_fmamk_f32 v37, v12, 0xbe11bafb, v6
	v_fma_f32 v6, v12, s12, -v6
	v_add_f32_e32 v2, v6, v2
	v_mov_b32_e32 v6, 2
	v_fmac_f32_e32 v26, 0x3ed4b147, v7
	v_mul_f32_e32 v18, 0xbf7d64f0, v18
	v_lshlrev_b32_sdwa v4, v6, v4 dst_sel:DWORD dst_unused:UNUSED_PAD src0_sel:DWORD src1_sel:BYTE_0
	v_add_f32_e32 v26, v26, v32
	v_fma_f32 v32, v7, s12, -v18
	v_fmac_f32_e32 v18, 0xbe11bafb, v7
	v_add3_u32 v0, 0, v0, v4
	v_add_f32_e32 v32, v32, v38
	v_add_f32_e32 v3, v18, v3
	ds_write2_b32 v0, v14, v22 offset1:10
	ds_write2_b32 v0, v20, v24 offset0:20 offset1:30
	ds_write2_b32 v0, v28, v32 offset0:40 offset1:50
	;; [unrolled: 1-line block ×4, first 2 shown]
	ds_write_b32 v0, v19 offset:400
	s_waitcnt lgkmcnt(0)
	s_barrier
	ds_read_b32 v24, v13
	ds_read_b32 v22, v21
	;; [unrolled: 1-line block ×3, first 2 shown]
	ds_read_b32 v28, v30 offset:4400
	ds_read_b32 v12, v30
	ds_read_b32 v26, v23
	ds_read_b32 v16, v17 offset:2200
	ds_read2_b32 v[14:15], v1 offset0:20 offset1:130
	ds_read2_b32 v[18:19], v5 offset0:112 offset1:222
	v_add_f32_e32 v52, v52, v57
	v_add_f32_e32 v46, v46, v52
	;; [unrolled: 1-line block ×5, first 2 shown]
	s_waitcnt lgkmcnt(0)
	s_barrier
	ds_write2_b32 v0, v35, v34 offset1:10
	ds_write2_b32 v0, v36, v29 offset0:20 offset1:30
	ds_write2_b32 v0, v33, v37 offset0:40 offset1:50
	;; [unrolled: 1-line block ×4, first 2 shown]
	ds_write_b32 v0, v41 offset:400
	s_waitcnt lgkmcnt(0)
	s_barrier
	s_and_saveexec_b64 s[38:39], vcc
	s_cbranch_execz .LBB0_29
; %bb.28:
	v_mul_u32_u24_e32 v0, 10, v45
	v_lshlrev_b32_e32 v31, 3, v0
	global_load_dwordx4 v[4:7], v31, s[4:5] offset:928
	global_load_dwordx4 v[0:3], v31, s[4:5] offset:864
	;; [unrolled: 1-line block ×3, first 2 shown]
	v_add_u32_e32 v37, 0xc00, v30
	ds_read_b32 v36, v13
	ds_read_b32 v38, v21
	;; [unrolled: 1-line block ×3, first 2 shown]
	ds_read_b32 v50, v30 offset:4400
	ds_read_b32 v13, v30
	ds_read2_b32 v[52:53], v37 offset0:112 offset1:222
	v_mul_lo_u32 v27, s7, v10
	v_mul_lo_u32 v29, s6, v11
	v_mad_u64_u32 v[10:11], s[6:7], s6, v10, 0
	v_mad_u64_u32 v[42:43], s[6:7], s16, v44, 0
	v_add_u32_e32 v21, 0x6e, v44
	v_mov_b32_e32 v48, v19
	v_mov_b32_e32 v46, v19
	v_add_u32_e32 v19, 0xdc, v44
	v_add_u32_e32 v39, 0x1b8, v44
	v_mov_b32_e32 v54, v43
	v_mad_u64_u32 v[56:57], s[6:7], s16, v21, 0
	v_add_u32_e32 v41, 0x226, v44
	v_add3_u32 v11, v11, v29, v27
	v_mad_u64_u32 v[58:59], s[6:7], s16, v19, 0
	v_mad_u64_u32 v[64:65], s[6:7], s16, v41, 0
	v_add_u32_e32 v25, 0x14a, v44
	v_lshl_add_u64 v[10:11], v[10:11], 3, s[10:11]
	v_lshl_add_u64 v[10:11], v[8:9], 3, v[10:11]
	s_waitcnt vmcnt(2)
	v_mov_b32_e32 v60, v7
	v_mov_b32_e32 v61, v6
	s_waitcnt lgkmcnt(2)
	v_pk_mul_f32 v[50:51], v[50:51], v[60:61] op_sel_hi:[0,1]
	s_waitcnt lgkmcnt(0)
	v_mov_b32_e32 v60, v53
	v_pk_mul_f32 v[60:61], v[60:61], v[4:5] op_sel:[0,1] op_sel_hi:[0,0]
	v_pk_fma_f32 v[48:49], v[48:49], v[4:5], v[60:61] op_sel_hi:[0,1,1]
	v_pk_fma_f32 v[46:47], v[46:47], v[4:5], v[60:61] neg_lo:[0,0,1] neg_hi:[0,0,1]
	v_pk_fma_f32 v[60:61], v[28:29], v[6:7], v[50:51] neg_lo:[0,0,1] neg_hi:[0,0,1]
	v_pk_fma_f32 v[50:51], v[28:29], v[6:7], v[50:51] op_sel_hi:[0,1,1]
	v_mad_u64_u32 v[6:7], s[6:7], s16, v39, 0
	v_mad_u64_u32 v[28:29], s[6:7], s17, v44, v[54:55]
	v_mov_b32_e32 v48, v57
	v_mov_b32_e32 v43, v28
	;; [unrolled: 1-line block ×3, first 2 shown]
	v_mad_u64_u32 v[54:55], s[6:7], s17, v21, v[48:49]
	v_mov_b32_e32 v48, v7
	v_mad_u64_u32 v[28:29], s[6:7], s17, v19, v[28:29]
	v_mad_u64_u32 v[62:63], s[6:7], s17, v39, v[48:49]
	v_mov_b32_e32 v48, v65
	v_mov_b32_e32 v57, v54
	v_mad_u64_u32 v[54:55], s[6:7], s17, v41, v[48:49]
	v_mov_b32_e32 v59, v28
	ds_read_b32 v28, v23
	ds_read_b32 v48, v17 offset:2200
	v_mad_u64_u32 v[4:5], s[6:7], s16, v25, 0
	v_mov_b32_e32 v8, v5
	v_mad_u64_u32 v[8:9], s[6:7], s17, v25, v[8:9]
	v_add_u32_e32 v19, 0x294, v44
	s_waitcnt vmcnt(1) lgkmcnt(1)
	v_pk_mul_f32 v[28:29], v[28:29], v[0:1] op_sel:[0,1] op_sel_hi:[0,0]
	v_mov_b32_e32 v5, v8
	v_mad_u64_u32 v[8:9], s[6:7], s16, v19, 0
	v_mov_b32_e32 v7, v62
	v_mov_b32_e32 v65, v54
	v_pk_fma_f32 v[54:55], v[26:27], v[0:1], v[28:29] neg_lo:[0,0,1] neg_hi:[0,0,1]
	v_pk_fma_f32 v[62:63], v[26:27], v[0:1], v[28:29] op_sel_hi:[0,1,1]
	v_mov_b32_e32 v0, v3
	v_mov_b32_e32 v1, v2
	;; [unrolled: 1-line block ×3, first 2 shown]
	v_pk_mul_f32 v[0:1], v[36:37], v[0:1] op_sel_hi:[0,1]
	v_pk_fma_f32 v[36:37], v[24:25], v[2:3], v[0:1] neg_lo:[0,0,1] neg_hi:[0,0,1]
	v_pk_fma_f32 v[66:67], v[24:25], v[2:3], v[0:1] op_sel_hi:[0,1,1]
	v_mad_u64_u32 v[0:1], s[6:7], s17, v19, v[50:51]
	v_mov_b32_e32 v9, v0
	s_waitcnt vmcnt(0)
	v_pk_mul_f32 v[0:1], v[38:39], v[32:33] op_sel:[0,1] op_sel_hi:[0,0]
	v_add_u32_e32 v2, 0x302, v44
	v_pk_fma_f32 v[38:39], v[22:23], v[32:33], v[0:1] neg_lo:[0,0,1] neg_hi:[0,0,1]
	v_pk_fma_f32 v[32:33], v[22:23], v[32:33], v[0:1] op_sel_hi:[0,1,1]
	v_mov_b32_e32 v0, v35
	v_mov_b32_e32 v1, v34
	v_pk_mul_f32 v[0:1], v[40:41], v[0:1] op_sel_hi:[0,1]
	v_mad_u64_u32 v[26:27], s[6:7], s16, v2, 0
	v_pk_fma_f32 v[40:41], v[20:21], v[34:35], v[0:1] neg_lo:[0,0,1] neg_hi:[0,0,1]
	v_pk_fma_f32 v[34:35], v[20:21], v[34:35], v[0:1] op_sel_hi:[0,1,1]
	v_mov_b32_e32 v0, v27
	v_mad_u64_u32 v[0:1], s[6:7], s17, v2, v[0:1]
	v_add_u32_e32 v1, 0x370, v44
	global_load_dwordx4 v[22:25], v31, s[4:5] offset:912
	v_mad_u64_u32 v[28:29], s[6:7], s16, v1, 0
	v_mov_b32_e32 v27, v0
	v_mov_b32_e32 v0, v29
	v_mad_u64_u32 v[0:1], s[6:7], s17, v1, v[0:1]
	v_mov_b32_e32 v29, v0
	v_lshl_add_u64 v[70:71], v[4:5], 3, v[10:11]
	v_lshl_add_u64 v[20:21], v[6:7], 3, v[10:11]
	;; [unrolled: 1-line block ×4, first 2 shown]
	global_load_dwordx4 v[26:29], v31, s[4:5] offset:896
	v_add_u32_e32 v1, 0x3de, v44
	v_mad_u64_u32 v[68:69], s[6:7], s16, v1, 0
	v_mov_b32_e32 v0, v69
	v_mad_u64_u32 v[0:1], s[6:7], s17, v1, v[0:1]
	v_add_u32_e32 v17, 0xa00, v30
	v_add_u32_e32 v1, 0x44c, v44
	ds_read2_b32 v[30:31], v17 offset0:20 offset1:130
	v_mad_u64_u32 v[44:45], s[6:7], s16, v1, 0
	v_mov_b32_e32 v69, v0
	v_mov_b32_e32 v0, v45
	v_mad_u64_u32 v[0:1], s[6:7], s17, v1, v[0:1]
	v_mov_b32_e32 v39, v33
	v_mov_b32_e32 v45, v0
	v_lshl_add_u64 v[42:43], v[42:43], 3, v[10:11]
	v_lshl_add_u64 v[56:57], v[56:57], 3, v[10:11]
	;; [unrolled: 1-line block ×7, first 2 shown]
	v_mov_b32_e32 v55, v63
	v_mov_b32_e32 v61, v51
	;; [unrolled: 1-line block ×5, first 2 shown]
	v_pk_add_f32 v[34:35], v[36:37], v[46:47] neg_lo:[0,1] neg_hi:[0,1]
	s_waitcnt vmcnt(1)
	v_mov_b32_e32 v32, v25
	v_mov_b32_e32 v33, v24
	v_pk_mul_f32 v[32:33], v[52:53], v[32:33] op_sel_hi:[0,1]
	v_pk_fma_f32 v[44:45], v[18:19], v[24:25], v[32:33] neg_lo:[0,0,1] neg_hi:[0,0,1]
	v_pk_fma_f32 v[18:19], v[18:19], v[24:25], v[32:33] op_sel_hi:[0,1,1]
	s_waitcnt lgkmcnt(0)
	v_mov_b32_e32 v32, v31
	v_mov_b32_e32 v18, v15
	;; [unrolled: 1-line block ×3, first 2 shown]
	v_pk_mul_f32 v[32:33], v[32:33], v[22:23] op_sel:[0,1] op_sel_hi:[0,0]
	v_mov_b32_e32 v45, v19
	v_pk_fma_f32 v[18:19], v[18:19], v[22:23], v[32:33] neg_lo:[0,0,1] neg_hi:[0,0,1]
	v_pk_fma_f32 v[22:23], v[24:25], v[22:23], v[32:33] op_sel_hi:[0,1,1]
	v_mov_b32_e32 v19, v23
	s_waitcnt vmcnt(0)
	v_pk_mul_f32 v[22:23], v[48:49], v[26:27] op_sel:[0,1] op_sel_hi:[0,0]
	v_pk_fma_f32 v[24:25], v[16:17], v[26:27], v[22:23] neg_lo:[0,0,1] neg_hi:[0,0,1]
	v_pk_fma_f32 v[16:17], v[16:17], v[26:27], v[22:23] op_sel_hi:[0,1,1]
	v_mov_b32_e32 v25, v17
	v_mov_b32_e32 v16, v29
	;; [unrolled: 1-line block ×3, first 2 shown]
	v_pk_mul_f32 v[16:17], v[30:31], v[16:17] op_sel_hi:[0,1]
	v_pk_fma_f32 v[22:23], v[14:15], v[28:29], v[16:17] neg_lo:[0,0,1] neg_hi:[0,0,1]
	v_pk_fma_f32 v[14:15], v[14:15], v[28:29], v[16:17] op_sel_hi:[0,1,1]
	v_mov_b32_e32 v23, v15
	v_pk_add_f32 v[14:15], v[60:61], v[54:55]
	v_pk_add_f32 v[16:17], v[54:55], v[60:61] neg_lo:[0,1] neg_hi:[0,1]
	v_pk_add_f32 v[54:55], v[12:13], v[54:55]
	v_pk_add_f32 v[32:33], v[46:47], v[36:37]
	;; [unrolled: 1-line block ×3, first 2 shown]
	v_pk_mul_f32 v[26:27], v[16:17], s[2:3] op_sel:[1,0] op_sel_hi:[0,0]
	v_pk_add_f32 v[36:37], v[36:37], v[38:39]
	v_pk_fma_f32 v[28:29], v[14:15], s[0:1], v[26:27] op_sel_hi:[1,0,1]
	v_pk_fma_f32 v[26:27], v[14:15], s[0:1], v[26:27] op_sel_hi:[1,0,1] neg_lo:[0,0,1] neg_hi:[0,0,1]
	v_pk_mul_f32 v[48:49], v[34:35], s[34:35] op_sel:[1,0] op_sel_hi:[0,0]
	v_pk_add_f32 v[36:37], v[36:37], v[40:41]
	v_mov_b32_e32 v30, v28
	v_mov_b32_e32 v31, v27
	v_pk_fma_f32 v[50:51], v[32:33], s[8:9], v[48:49] op_sel_hi:[1,0,1]
	v_pk_fma_f32 v[48:49], v[32:33], s[8:9], v[48:49] op_sel_hi:[1,0,1] neg_lo:[0,0,1] neg_hi:[0,0,1]
	v_pk_add_f32 v[36:37], v[36:37], v[24:25]
	v_pk_add_f32 v[30:31], v[12:13], v[30:31]
	v_mov_b32_e32 v52, v50
	v_mov_b32_e32 v53, v49
	v_pk_add_f32 v[36:37], v[22:23], v[36:37]
	v_pk_add_f32 v[30:31], v[30:31], v[52:53]
	;; [unrolled: 1-line block ×3, first 2 shown]
	v_pk_add_f32 v[62:63], v[38:39], v[44:45] neg_lo:[0,1] neg_hi:[0,1]
	v_pk_add_f32 v[38:39], v[18:19], v[40:41]
	v_pk_add_f32 v[40:41], v[40:41], v[18:19] neg_lo:[0,1] neg_hi:[0,1]
	v_pk_add_f32 v[18:19], v[18:19], v[36:37]
	v_pk_mul_f32 v[64:65], v[62:63], s[14:15] op_sel:[1,0] op_sel_hi:[0,0]
	v_pk_add_f32 v[18:19], v[44:45], v[18:19]
	v_pk_fma_f32 v[66:67], v[52:53], s[12:13], v[64:65] op_sel_hi:[1,0,1]
	v_pk_add_f32 v[18:19], v[46:47], v[18:19]
	v_pk_fma_f32 v[64:65], v[52:53], s[12:13], v[64:65] op_sel_hi:[1,0,1] neg_lo:[0,0,1] neg_hi:[0,0,1]
	v_pk_add_f32 v[18:19], v[60:61], v[18:19]
	global_store_dwordx2 v[42:43], v[18:19], off
	v_pk_mul_f32 v[18:19], v[40:41], s[20:21] op_sel:[1,0] op_sel_hi:[0,0]
	v_mov_b32_e32 v68, v66
	v_mov_b32_e32 v69, v65
	v_pk_fma_f32 v[36:37], v[38:39], s[18:19], v[18:19] op_sel_hi:[1,0,1]
	v_pk_fma_f32 v[18:19], v[38:39], s[18:19], v[18:19] op_sel_hi:[1,0,1] neg_lo:[0,0,1] neg_hi:[0,0,1]
	v_pk_add_f32 v[30:31], v[30:31], v[68:69]
	v_mov_b32_e32 v42, v36
	v_mov_b32_e32 v43, v19
	;; [unrolled: 1-line block ×3, first 2 shown]
	v_pk_add_f32 v[30:31], v[30:31], v[42:43]
	v_pk_add_f32 v[42:43], v[22:23], v[24:25]
	v_pk_add_f32 v[22:23], v[24:25], v[22:23] neg_lo:[0,1] neg_hi:[0,1]
	v_mov_b32_e32 v49, v51
	v_pk_add_f32 v[26:27], v[12:13], v[26:27]
	v_pk_mul_f32 v[24:25], v[22:23], s[24:25] op_sel:[1,0] op_sel_hi:[0,0]
	v_pk_add_f32 v[26:27], v[26:27], v[48:49]
	v_mov_b32_e32 v65, v67
	v_pk_fma_f32 v[44:45], v[42:43], s[22:23], v[24:25] op_sel_hi:[1,0,1]
	v_pk_fma_f32 v[24:25], v[42:43], s[22:23], v[24:25] op_sel_hi:[1,0,1] neg_lo:[0,0,1] neg_hi:[0,0,1]
	v_pk_add_f32 v[26:27], v[26:27], v[64:65]
	v_mov_b32_e32 v19, v37
	v_mov_b32_e32 v47, v25
	v_pk_add_f32 v[18:19], v[26:27], v[18:19]
	v_mov_b32_e32 v25, v45
	v_pk_add_f32 v[18:19], v[18:19], v[24:25]
	global_store_dwordx2 v[56:57], v[18:19], off
	v_pk_mul_f32 v[18:19], v[16:17], s[34:35] op_sel:[1,0] op_sel_hi:[0,0]
	v_mov_b32_e32 v46, v44
	v_pk_mul_f32 v[24:25], v[34:35], s[20:21] op_sel:[1,0] op_sel_hi:[0,0]
	v_pk_fma_f32 v[36:37], v[14:15], s[8:9], v[18:19] op_sel_hi:[1,0,1]
	v_pk_fma_f32 v[18:19], v[14:15], s[8:9], v[18:19] op_sel_hi:[1,0,1] neg_lo:[0,0,1] neg_hi:[0,0,1]
	v_pk_add_f32 v[30:31], v[30:31], v[46:47]
	v_mov_b32_e32 v44, v36
	v_mov_b32_e32 v45, v19
	v_pk_fma_f32 v[46:47], v[32:33], s[18:19], v[24:25] op_sel_hi:[1,0,1]
	v_pk_fma_f32 v[24:25], v[32:33], s[18:19], v[24:25] op_sel_hi:[1,0,1] neg_lo:[0,0,1] neg_hi:[0,0,1]
	v_pk_mul_f32 v[26:27], v[62:63], s[36:37] op_sel:[1,0] op_sel_hi:[0,0]
	v_pk_add_f32 v[44:45], v[12:13], v[44:45]
	v_mov_b32_e32 v48, v46
	v_mov_b32_e32 v49, v25
	v_pk_add_f32 v[44:45], v[44:45], v[48:49]
	v_pk_fma_f32 v[48:49], v[52:53], s[22:23], v[26:27] op_sel_hi:[1,0,1]
	v_pk_fma_f32 v[26:27], v[52:53], s[22:23], v[26:27] op_sel_hi:[1,0,1] neg_lo:[0,0,1] neg_hi:[0,0,1]
	v_pk_mul_f32 v[28:29], v[40:41], s[30:31] op_sel:[1,0] op_sel_hi:[0,0]
	v_mov_b32_e32 v50, v48
	v_mov_b32_e32 v51, v27
	v_pk_add_f32 v[44:45], v[44:45], v[50:51]
	v_pk_fma_f32 v[50:51], v[38:39], s[12:13], v[28:29] op_sel_hi:[1,0,1]
	v_pk_fma_f32 v[28:29], v[38:39], s[12:13], v[28:29] op_sel_hi:[1,0,1] neg_lo:[0,0,1] neg_hi:[0,0,1]
	v_mov_b32_e32 v19, v37
	v_mov_b32_e32 v54, v50
	;; [unrolled: 1-line block ×4, first 2 shown]
	v_pk_add_f32 v[18:19], v[12:13], v[18:19]
	v_pk_add_f32 v[44:45], v[44:45], v[54:55]
	v_pk_mul_f32 v[54:55], v[22:23], s[26:27] op_sel:[1,0] op_sel_hi:[0,0]
	v_pk_add_f32 v[18:19], v[18:19], v[24:25]
	v_mov_b32_e32 v27, v49
	v_pk_fma_f32 v[56:57], v[42:43], s[0:1], v[54:55] op_sel_hi:[1,0,1]
	v_pk_fma_f32 v[54:55], v[42:43], s[0:1], v[54:55] op_sel_hi:[1,0,1] neg_lo:[0,0,1] neg_hi:[0,0,1]
	v_pk_add_f32 v[18:19], v[18:19], v[26:27]
	v_mov_b32_e32 v29, v51
	v_mov_b32_e32 v61, v55
	v_pk_add_f32 v[18:19], v[18:19], v[28:29]
	v_mov_b32_e32 v55, v57
	v_pk_add_f32 v[18:19], v[18:19], v[54:55]
	global_store_dwordx2 v[58:59], v[18:19], off
	v_pk_mul_f32 v[18:19], v[16:17], s[14:15] op_sel:[1,0] op_sel_hi:[0,0]
	v_pk_fma_f32 v[24:25], v[14:15], s[12:13], v[18:19] op_sel_hi:[1,0,1]
	v_pk_fma_f32 v[18:19], v[14:15], s[12:13], v[18:19] op_sel_hi:[1,0,1] neg_lo:[0,0,1] neg_hi:[0,0,1]
	v_pk_mul_f32 v[28:29], v[34:35], s[36:37] op_sel:[1,0] op_sel_hi:[0,0]
	v_mov_b32_e32 v26, v24
	v_mov_b32_e32 v27, v19
	v_pk_fma_f32 v[36:37], v[32:33], s[22:23], v[28:29] op_sel_hi:[1,0,1]
	v_pk_fma_f32 v[28:29], v[32:33], s[22:23], v[28:29] op_sel_hi:[1,0,1] neg_lo:[0,0,1] neg_hi:[0,0,1]
	v_pk_add_f32 v[26:27], v[12:13], v[26:27]
	v_mov_b32_e32 v46, v36
	v_mov_b32_e32 v47, v29
	v_pk_add_f32 v[26:27], v[26:27], v[46:47]
	v_pk_mul_f32 v[46:47], v[62:63], s[28:29] op_sel:[1,0] op_sel_hi:[0,0]
	v_pk_fma_f32 v[48:49], v[52:53], s[8:9], v[46:47] op_sel_hi:[1,0,1]
	v_pk_fma_f32 v[46:47], v[52:53], s[8:9], v[46:47] op_sel_hi:[1,0,1] neg_lo:[0,0,1] neg_hi:[0,0,1]
	v_mov_b32_e32 v50, v48
	v_mov_b32_e32 v51, v47
	v_pk_add_f32 v[26:27], v[26:27], v[50:51]
	v_pk_mul_f32 v[50:51], v[40:41], s[2:3] op_sel:[1,0] op_sel_hi:[0,0]
	v_pk_fma_f32 v[54:55], v[38:39], s[0:1], v[50:51] op_sel_hi:[1,0,1]
	v_pk_fma_f32 v[50:51], v[38:39], s[0:1], v[50:51] op_sel_hi:[1,0,1] neg_lo:[0,0,1] neg_hi:[0,0,1]
	v_mov_b32_e32 v19, v25
	v_mov_b32_e32 v60, v56
	;; [unrolled: 1-line block ×5, first 2 shown]
	v_pk_add_f32 v[18:19], v[12:13], v[18:19]
	v_pk_add_f32 v[26:27], v[26:27], v[56:57]
	v_pk_mul_f32 v[56:57], v[22:23], s[20:21] op_sel:[1,0] op_sel_hi:[0,0]
	v_pk_add_f32 v[18:19], v[18:19], v[28:29]
	v_mov_b32_e32 v47, v49
	v_pk_fma_f32 v[58:59], v[42:43], s[18:19], v[56:57] op_sel_hi:[1,0,1]
	v_pk_fma_f32 v[56:57], v[42:43], s[18:19], v[56:57] op_sel_hi:[1,0,1] neg_lo:[0,0,1] neg_hi:[0,0,1]
	v_pk_add_f32 v[18:19], v[18:19], v[46:47]
	v_mov_b32_e32 v51, v55
	v_pk_add_f32 v[44:45], v[44:45], v[60:61]
	v_mov_b32_e32 v61, v57
	;; [unrolled: 2-line block ×3, first 2 shown]
	v_pk_add_f32 v[18:19], v[18:19], v[56:57]
	global_store_dwordx2 v[70:71], v[18:19], off
	v_pk_mul_f32 v[18:19], v[16:17], s[20:21] op_sel:[1,0] op_sel_hi:[0,0]
	v_pk_mul_f32 v[24:25], v[34:35], s[30:31] op_sel:[1,0] op_sel_hi:[0,0]
	v_pk_fma_f32 v[46:47], v[14:15], s[18:19], v[18:19] op_sel_hi:[1,0,1]
	v_pk_fma_f32 v[18:19], v[14:15], s[18:19], v[18:19] op_sel_hi:[1,0,1] neg_lo:[0,0,1] neg_hi:[0,0,1]
	v_mov_b32_e32 v48, v46
	v_mov_b32_e32 v49, v19
	v_pk_fma_f32 v[50:51], v[32:33], s[12:13], v[24:25] op_sel_hi:[1,0,1]
	v_pk_fma_f32 v[24:25], v[32:33], s[12:13], v[24:25] op_sel_hi:[1,0,1] neg_lo:[0,0,1] neg_hi:[0,0,1]
	v_pk_mul_f32 v[28:29], v[62:63], s[2:3] op_sel:[1,0] op_sel_hi:[0,0]
	v_pk_add_f32 v[48:49], v[12:13], v[48:49]
	v_mov_b32_e32 v54, v50
	v_mov_b32_e32 v55, v25
	v_pk_add_f32 v[48:49], v[48:49], v[54:55]
	v_pk_fma_f32 v[54:55], v[52:53], s[0:1], v[28:29] op_sel_hi:[1,0,1]
	v_pk_fma_f32 v[28:29], v[52:53], s[0:1], v[28:29] op_sel_hi:[1,0,1] neg_lo:[0,0,1] neg_hi:[0,0,1]
	v_pk_mul_f32 v[36:37], v[40:41], s[24:25] op_sel:[1,0] op_sel_hi:[0,0]
	v_mov_b32_e32 v56, v54
	v_mov_b32_e32 v57, v29
	v_pk_add_f32 v[48:49], v[48:49], v[56:57]
	v_pk_fma_f32 v[56:57], v[38:39], s[22:23], v[36:37] op_sel_hi:[1,0,1]
	v_pk_fma_f32 v[36:37], v[38:39], s[22:23], v[36:37] op_sel_hi:[1,0,1] neg_lo:[0,0,1] neg_hi:[0,0,1]
	v_mov_b32_e32 v19, v47
	v_mov_b32_e32 v60, v58
	;; [unrolled: 1-line block ×5, first 2 shown]
	v_pk_add_f32 v[18:19], v[12:13], v[18:19]
	v_pk_add_f32 v[48:49], v[48:49], v[58:59]
	v_pk_mul_f32 v[58:59], v[22:23], s[28:29] op_sel:[1,0] op_sel_hi:[0,0]
	v_pk_add_f32 v[18:19], v[18:19], v[24:25]
	v_mov_b32_e32 v29, v55
	v_pk_add_f32 v[26:27], v[26:27], v[60:61]
	v_pk_fma_f32 v[60:61], v[42:43], s[8:9], v[58:59] op_sel_hi:[1,0,1]
	v_pk_fma_f32 v[58:59], v[42:43], s[8:9], v[58:59] op_sel_hi:[1,0,1] neg_lo:[0,0,1] neg_hi:[0,0,1]
	v_pk_add_f32 v[18:19], v[18:19], v[28:29]
	v_mov_b32_e32 v37, v57
	v_mov_b32_e32 v65, v59
	v_pk_add_f32 v[18:19], v[18:19], v[36:37]
	v_mov_b32_e32 v59, v61
	v_pk_add_f32 v[18:19], v[18:19], v[58:59]
	v_pk_mul_f32 v[16:17], v[16:17], s[24:25] op_sel:[1,0] op_sel_hi:[0,0]
	global_store_dwordx2 v[20:21], v[18:19], off
	v_pk_fma_f32 v[18:19], v[14:15], s[22:23], v[16:17] op_sel_hi:[1,0,1]
	v_pk_fma_f32 v[14:15], v[14:15], s[22:23], v[16:17] op_sel_hi:[1,0,1] neg_lo:[0,0,1] neg_hi:[0,0,1]
	v_pk_mul_f32 v[20:21], v[34:35], s[26:27] op_sel:[1,0] op_sel_hi:[0,0]
	v_mov_b32_e32 v16, v18
	v_mov_b32_e32 v17, v15
	v_pk_fma_f32 v[24:25], v[32:33], s[0:1], v[20:21] op_sel_hi:[1,0,1]
	v_pk_fma_f32 v[20:21], v[32:33], s[0:1], v[20:21] op_sel_hi:[1,0,1] neg_lo:[0,0,1] neg_hi:[0,0,1]
	v_pk_add_f32 v[16:17], v[12:13], v[16:17]
	v_mov_b32_e32 v28, v24
	v_mov_b32_e32 v29, v21
	v_pk_add_f32 v[16:17], v[16:17], v[28:29]
	v_pk_mul_f32 v[28:29], v[62:63], s[20:21] op_sel:[1,0] op_sel_hi:[0,0]
	v_pk_fma_f32 v[32:33], v[52:53], s[18:19], v[28:29] op_sel_hi:[1,0,1]
	v_pk_fma_f32 v[28:29], v[52:53], s[18:19], v[28:29] op_sel_hi:[1,0,1] neg_lo:[0,0,1] neg_hi:[0,0,1]
	v_mov_b32_e32 v34, v32
	v_mov_b32_e32 v35, v29
	v_pk_add_f32 v[16:17], v[16:17], v[34:35]
	v_pk_mul_f32 v[34:35], v[40:41], s[28:29] op_sel:[1,0] op_sel_hi:[0,0]
	v_mov_b32_e32 v15, v19
	v_pk_fma_f32 v[36:37], v[38:39], s[8:9], v[34:35] op_sel_hi:[1,0,1]
	v_pk_fma_f32 v[34:35], v[38:39], s[8:9], v[34:35] op_sel_hi:[1,0,1] neg_lo:[0,0,1] neg_hi:[0,0,1]
	v_pk_add_f32 v[12:13], v[12:13], v[14:15]
	v_mov_b32_e32 v21, v25
	v_mov_b32_e32 v38, v36
	;; [unrolled: 1-line block ×3, first 2 shown]
	v_pk_mul_f32 v[22:23], v[22:23], s[14:15] op_sel:[1,0] op_sel_hi:[0,0]
	v_pk_add_f32 v[12:13], v[12:13], v[20:21]
	v_mov_b32_e32 v29, v33
	v_pk_add_f32 v[16:17], v[16:17], v[38:39]
	v_pk_fma_f32 v[38:39], v[42:43], s[12:13], v[22:23] op_sel_hi:[1,0,1]
	v_pk_fma_f32 v[22:23], v[42:43], s[12:13], v[22:23] op_sel_hi:[1,0,1] neg_lo:[0,0,1] neg_hi:[0,0,1]
	v_pk_add_f32 v[12:13], v[12:13], v[28:29]
	v_mov_b32_e32 v35, v37
	v_mov_b32_e32 v41, v23
	v_pk_add_f32 v[12:13], v[12:13], v[34:35]
	v_mov_b32_e32 v23, v39
	v_mov_b32_e32 v64, v60
	;; [unrolled: 1-line block ×3, first 2 shown]
	v_pk_add_f32 v[12:13], v[12:13], v[22:23]
	v_pk_add_f32 v[48:49], v[48:49], v[64:65]
	;; [unrolled: 1-line block ×3, first 2 shown]
	global_store_dwordx2 v[0:1], v[12:13], off
	global_store_dwordx2 v[2:3], v[16:17], off
	;; [unrolled: 1-line block ×6, first 2 shown]
.LBB0_29:
	s_endpgm
	.section	.rodata,"a",@progbits
	.p2align	6, 0x0
	.amdhsa_kernel fft_rtc_fwd_len1210_factors_2_5_11_11_wgs_110_tpt_110_halfLds_sp_op_CI_CI_sbrr_dirReg
		.amdhsa_group_segment_fixed_size 0
		.amdhsa_private_segment_fixed_size 0
		.amdhsa_kernarg_size 104
		.amdhsa_user_sgpr_count 2
		.amdhsa_user_sgpr_dispatch_ptr 0
		.amdhsa_user_sgpr_queue_ptr 0
		.amdhsa_user_sgpr_kernarg_segment_ptr 1
		.amdhsa_user_sgpr_dispatch_id 0
		.amdhsa_user_sgpr_kernarg_preload_length 0
		.amdhsa_user_sgpr_kernarg_preload_offset 0
		.amdhsa_user_sgpr_private_segment_size 0
		.amdhsa_uses_dynamic_stack 0
		.amdhsa_enable_private_segment 0
		.amdhsa_system_sgpr_workgroup_id_x 1
		.amdhsa_system_sgpr_workgroup_id_y 0
		.amdhsa_system_sgpr_workgroup_id_z 0
		.amdhsa_system_sgpr_workgroup_info 0
		.amdhsa_system_vgpr_workitem_id 0
		.amdhsa_next_free_vgpr 72
		.amdhsa_next_free_sgpr 40
		.amdhsa_accum_offset 72
		.amdhsa_reserve_vcc 1
		.amdhsa_float_round_mode_32 0
		.amdhsa_float_round_mode_16_64 0
		.amdhsa_float_denorm_mode_32 3
		.amdhsa_float_denorm_mode_16_64 3
		.amdhsa_dx10_clamp 1
		.amdhsa_ieee_mode 1
		.amdhsa_fp16_overflow 0
		.amdhsa_tg_split 0
		.amdhsa_exception_fp_ieee_invalid_op 0
		.amdhsa_exception_fp_denorm_src 0
		.amdhsa_exception_fp_ieee_div_zero 0
		.amdhsa_exception_fp_ieee_overflow 0
		.amdhsa_exception_fp_ieee_underflow 0
		.amdhsa_exception_fp_ieee_inexact 0
		.amdhsa_exception_int_div_zero 0
	.end_amdhsa_kernel
	.text
.Lfunc_end0:
	.size	fft_rtc_fwd_len1210_factors_2_5_11_11_wgs_110_tpt_110_halfLds_sp_op_CI_CI_sbrr_dirReg, .Lfunc_end0-fft_rtc_fwd_len1210_factors_2_5_11_11_wgs_110_tpt_110_halfLds_sp_op_CI_CI_sbrr_dirReg
                                        ; -- End function
	.section	.AMDGPU.csdata,"",@progbits
; Kernel info:
; codeLenInByte = 9392
; NumSgprs: 46
; NumVgprs: 72
; NumAgprs: 0
; TotalNumVgprs: 72
; ScratchSize: 0
; MemoryBound: 0
; FloatMode: 240
; IeeeMode: 1
; LDSByteSize: 0 bytes/workgroup (compile time only)
; SGPRBlocks: 5
; VGPRBlocks: 8
; NumSGPRsForWavesPerEU: 46
; NumVGPRsForWavesPerEU: 72
; AccumOffset: 72
; Occupancy: 7
; WaveLimiterHint : 1
; COMPUTE_PGM_RSRC2:SCRATCH_EN: 0
; COMPUTE_PGM_RSRC2:USER_SGPR: 2
; COMPUTE_PGM_RSRC2:TRAP_HANDLER: 0
; COMPUTE_PGM_RSRC2:TGID_X_EN: 1
; COMPUTE_PGM_RSRC2:TGID_Y_EN: 0
; COMPUTE_PGM_RSRC2:TGID_Z_EN: 0
; COMPUTE_PGM_RSRC2:TIDIG_COMP_CNT: 0
; COMPUTE_PGM_RSRC3_GFX90A:ACCUM_OFFSET: 17
; COMPUTE_PGM_RSRC3_GFX90A:TG_SPLIT: 0
	.text
	.p2alignl 6, 3212836864
	.fill 256, 4, 3212836864
	.type	__hip_cuid_58af5322a509c357,@object ; @__hip_cuid_58af5322a509c357
	.section	.bss,"aw",@nobits
	.globl	__hip_cuid_58af5322a509c357
__hip_cuid_58af5322a509c357:
	.byte	0                               ; 0x0
	.size	__hip_cuid_58af5322a509c357, 1

	.ident	"AMD clang version 19.0.0git (https://github.com/RadeonOpenCompute/llvm-project roc-6.4.0 25133 c7fe45cf4b819c5991fe208aaa96edf142730f1d)"
	.section	".note.GNU-stack","",@progbits
	.addrsig
	.addrsig_sym __hip_cuid_58af5322a509c357
	.amdgpu_metadata
---
amdhsa.kernels:
  - .agpr_count:     0
    .args:
      - .actual_access:  read_only
        .address_space:  global
        .offset:         0
        .size:           8
        .value_kind:     global_buffer
      - .offset:         8
        .size:           8
        .value_kind:     by_value
      - .actual_access:  read_only
        .address_space:  global
        .offset:         16
        .size:           8
        .value_kind:     global_buffer
      - .actual_access:  read_only
        .address_space:  global
        .offset:         24
        .size:           8
        .value_kind:     global_buffer
      - .actual_access:  read_only
        .address_space:  global
        .offset:         32
        .size:           8
        .value_kind:     global_buffer
      - .offset:         40
        .size:           8
        .value_kind:     by_value
      - .actual_access:  read_only
        .address_space:  global
        .offset:         48
        .size:           8
        .value_kind:     global_buffer
      - .actual_access:  read_only
        .address_space:  global
        .offset:         56
        .size:           8
        .value_kind:     global_buffer
      - .offset:         64
        .size:           4
        .value_kind:     by_value
      - .actual_access:  read_only
        .address_space:  global
        .offset:         72
        .size:           8
        .value_kind:     global_buffer
      - .actual_access:  read_only
        .address_space:  global
        .offset:         80
        .size:           8
        .value_kind:     global_buffer
      - .actual_access:  read_only
        .address_space:  global
        .offset:         88
        .size:           8
        .value_kind:     global_buffer
      - .actual_access:  write_only
        .address_space:  global
        .offset:         96
        .size:           8
        .value_kind:     global_buffer
    .group_segment_fixed_size: 0
    .kernarg_segment_align: 8
    .kernarg_segment_size: 104
    .language:       OpenCL C
    .language_version:
      - 2
      - 0
    .max_flat_workgroup_size: 110
    .name:           fft_rtc_fwd_len1210_factors_2_5_11_11_wgs_110_tpt_110_halfLds_sp_op_CI_CI_sbrr_dirReg
    .private_segment_fixed_size: 0
    .sgpr_count:     46
    .sgpr_spill_count: 0
    .symbol:         fft_rtc_fwd_len1210_factors_2_5_11_11_wgs_110_tpt_110_halfLds_sp_op_CI_CI_sbrr_dirReg.kd
    .uniform_work_group_size: 1
    .uses_dynamic_stack: false
    .vgpr_count:     72
    .vgpr_spill_count: 0
    .wavefront_size: 64
amdhsa.target:   amdgcn-amd-amdhsa--gfx950
amdhsa.version:
  - 1
  - 2
...

	.end_amdgpu_metadata
